;; amdgpu-corpus repo=ROCm/rocFFT kind=compiled arch=gfx1030 opt=O3
	.text
	.amdgcn_target "amdgcn-amd-amdhsa--gfx1030"
	.amdhsa_code_object_version 6
	.protected	bluestein_single_back_len567_dim1_dp_op_CI_CI ; -- Begin function bluestein_single_back_len567_dim1_dp_op_CI_CI
	.globl	bluestein_single_back_len567_dim1_dp_op_CI_CI
	.p2align	8
	.type	bluestein_single_back_len567_dim1_dp_op_CI_CI,@function
bluestein_single_back_len567_dim1_dp_op_CI_CI: ; @bluestein_single_back_len567_dim1_dp_op_CI_CI
; %bb.0:
	s_load_dwordx4 s[12:15], s[4:5], 0x28
	v_mul_u32_u24_e32 v1, 0x411, v0
	v_mov_b32_e32 v165, 0
	s_mov_b32 s0, exec_lo
	v_lshrrev_b32_e32 v1, 16, v1
	v_add_nc_u32_e32 v164, s6, v1
	s_waitcnt lgkmcnt(0)
	v_cmpx_gt_u64_e64 s[12:13], v[164:165]
	s_cbranch_execz .LBB0_15
; %bb.1:
	s_clause 0x1
	s_load_dwordx4 s[8:11], s[4:5], 0x18
	s_load_dwordx2 s[6:7], s[4:5], 0x0
	v_mul_lo_u16 v1, v1, 63
	v_sub_nc_u16 v86, v0, v1
	v_and_b32_e32 v168, 0xffff, v86
	v_lshlrev_b32_e32 v167, 4, v168
	s_waitcnt lgkmcnt(0)
	s_load_dwordx4 s[0:3], s[8:9], 0x0
	s_waitcnt lgkmcnt(0)
	v_mad_u64_u32 v[8:9], null, s2, v164, 0
	v_mad_u64_u32 v[10:11], null, s0, v168, 0
	v_add_co_u32 v158, s2, s6, v167
	v_add_co_ci_u32_e64 v159, null, s7, 0, s2
	v_mov_b32_e32 v0, v9
	v_add_co_u32 v160, vcc_lo, 0x800, v158
	v_mov_b32_e32 v9, v11
	v_add_co_ci_u32_e32 v161, vcc_lo, 0, v159, vcc_lo
	v_mad_u64_u32 v[11:12], null, s3, v164, v[0:1]
	v_mad_u64_u32 v[12:13], null, s1, v168, v[9:10]
	v_add_co_u32 v162, vcc_lo, 0x1000, v158
	v_add_co_ci_u32_e32 v163, vcc_lo, 0, v159, vcc_lo
	v_mov_b32_e32 v9, v11
	s_clause 0x1
	global_load_dwordx4 v[0:3], v167, s[6:7]
	global_load_dwordx4 v[4:7], v167, s[6:7] offset:1296
	v_mov_b32_e32 v11, v12
	s_mul_i32 s3, s1, 0x51
	s_mul_hi_u32 s6, s0, 0x51
	v_lshlrev_b64 v[8:9], 4, v[8:9]
	s_mul_i32 s2, s0, 0x51
	v_lshlrev_b64 v[10:11], 4, v[10:11]
	s_add_i32 s3, s6, s3
	s_lshl_b64 s[6:7], s[2:3], 4
	v_add_co_u32 v8, vcc_lo, s14, v8
	v_add_co_ci_u32_e32 v9, vcc_lo, s15, v9, vcc_lo
	v_add_co_u32 v16, vcc_lo, v8, v10
	v_add_co_ci_u32_e32 v17, vcc_lo, v9, v11, vcc_lo
	s_clause 0x1
	global_load_dwordx4 v[12:15], v[160:161], off offset:544
	global_load_dwordx4 v[8:11], v[160:161], off offset:1840
	v_add_co_u32 v18, vcc_lo, v16, s6
	v_add_co_ci_u32_e32 v19, vcc_lo, s7, v17, vcc_lo
	v_add_co_u32 v156, vcc_lo, 0x1800, v158
	v_add_co_ci_u32_e32 v157, vcc_lo, 0, v159, vcc_lo
	;; [unrolled: 2-line block ×3, first 2 shown]
	s_clause 0x1
	global_load_dwordx4 v[30:33], v[16:17], off
	global_load_dwordx4 v[34:37], v[18:19], off
	v_add_co_u32 v22, vcc_lo, v20, s6
	v_add_co_ci_u32_e32 v23, vcc_lo, s7, v21, vcc_lo
	s_clause 0x1
	global_load_dwordx4 v[38:41], v[20:21], off
	global_load_dwordx4 v[42:45], v[22:23], off
	v_add_co_u32 v16, vcc_lo, v22, s6
	v_add_co_ci_u32_e32 v17, vcc_lo, s7, v23, vcc_lo
	v_add_co_u32 v24, vcc_lo, v16, s6
	v_add_co_ci_u32_e32 v25, vcc_lo, s7, v17, vcc_lo
	global_load_dwordx4 v[46:49], v[16:17], off
	v_add_co_u32 v28, vcc_lo, v24, s6
	v_add_co_ci_u32_e32 v29, vcc_lo, s7, v25, vcc_lo
	s_clause 0x1
	global_load_dwordx4 v[20:23], v[162:163], off offset:1088
	global_load_dwordx4 v[16:19], v[156:157], off offset:336
	global_load_dwordx4 v[50:53], v[24:25], off
	global_load_dwordx4 v[24:27], v[156:157], off offset:1632
	global_load_dwordx4 v[54:57], v[28:29], off
	s_load_dwordx2 s[2:3], s[4:5], 0x38
	s_load_dwordx4 s[8:11], s[10:11], 0x0
	v_cmp_gt_u16_e32 vcc_lo, 18, v86
	s_waitcnt vmcnt(9)
	v_mul_f64 v[58:59], v[32:33], v[2:3]
	v_mul_f64 v[60:61], v[30:31], v[2:3]
	s_waitcnt vmcnt(8)
	v_mul_f64 v[62:63], v[36:37], v[6:7]
	v_mul_f64 v[64:65], v[34:35], v[6:7]
	s_waitcnt vmcnt(7)
	v_mul_f64 v[66:67], v[40:41], v[14:15]
	s_waitcnt vmcnt(6)
	v_mul_f64 v[70:71], v[44:45], v[10:11]
	v_mul_f64 v[72:73], v[42:43], v[10:11]
	;; [unrolled: 1-line block ×3, first 2 shown]
	s_waitcnt vmcnt(4)
	v_mul_f64 v[74:75], v[48:49], v[22:23]
	v_mul_f64 v[76:77], v[46:47], v[22:23]
	s_waitcnt vmcnt(2)
	v_mul_f64 v[78:79], v[52:53], v[18:19]
	v_mul_f64 v[80:81], v[50:51], v[18:19]
	;; [unrolled: 3-line block ×3, first 2 shown]
	v_fma_f64 v[30:31], v[30:31], v[0:1], v[58:59]
	v_fma_f64 v[32:33], v[32:33], v[0:1], -v[60:61]
	v_fma_f64 v[34:35], v[34:35], v[4:5], v[62:63]
	v_fma_f64 v[36:37], v[36:37], v[4:5], -v[64:65]
	v_fma_f64 v[38:39], v[38:39], v[12:13], v[66:67]
	v_fma_f64 v[42:43], v[42:43], v[8:9], v[70:71]
	v_fma_f64 v[44:45], v[44:45], v[8:9], -v[72:73]
	v_fma_f64 v[40:41], v[40:41], v[12:13], -v[68:69]
	ds_write_b128 v167, v[30:33]
	ds_write_b128 v167, v[34:37] offset:1296
	ds_write_b128 v167, v[38:41] offset:2592
	v_fma_f64 v[46:47], v[46:47], v[20:21], v[74:75]
	v_fma_f64 v[48:49], v[48:49], v[20:21], -v[76:77]
	v_fma_f64 v[50:51], v[50:51], v[16:17], v[78:79]
	v_fma_f64 v[52:53], v[52:53], v[16:17], -v[80:81]
	;; [unrolled: 2-line block ×3, first 2 shown]
	ds_write_b128 v167, v[42:45] offset:3888
	ds_write_b128 v167, v[46:49] offset:5184
	;; [unrolled: 1-line block ×4, first 2 shown]
	s_and_saveexec_b32 s12, vcc_lo
	s_cbranch_execz .LBB0_3
; %bb.2:
	v_mad_u64_u32 v[44:45], null, 0xffffe590, s0, v[28:29]
	s_mulk_i32 s1, 0xe590
	s_clause 0x1
	global_load_dwordx4 v[28:31], v[158:159], off offset:1008
	global_load_dwordx4 v[32:35], v[160:161], off offset:256
	s_sub_i32 s0, s1, s0
	s_clause 0x1
	global_load_dwordx4 v[36:39], v[160:161], off offset:1552
	global_load_dwordx4 v[40:43], v[162:163], off offset:800
	v_add_nc_u32_e32 v45, s0, v45
	v_add_co_u32 v48, s0, v44, s6
	v_add_co_ci_u32_e64 v49, s0, s7, v45, s0
	v_add_co_u32 v52, s0, v48, s6
	v_add_co_ci_u32_e64 v53, s0, s7, v49, s0
	;; [unrolled: 2-line block ×4, first 2 shown]
	v_add_co_u32 v68, s0, v64, s6
	global_load_dwordx4 v[44:47], v[44:45], off
	global_load_dwordx4 v[48:51], v[48:49], off
	;; [unrolled: 1-line block ×5, first 2 shown]
	v_add_co_ci_u32_e64 v69, s0, s7, v65, s0
	v_add_co_u32 v76, s0, 0x2000, v158
	v_add_co_ci_u32_e64 v77, s0, 0, v159, s0
	v_add_co_u32 v80, s0, v68, s6
	v_add_co_ci_u32_e64 v81, s0, s7, v69, s0
	global_load_dwordx4 v[64:67], v[156:157], off offset:48
	global_load_dwordx4 v[68:71], v[68:69], off
	s_clause 0x1
	global_load_dwordx4 v[72:75], v[156:157], off offset:1344
	global_load_dwordx4 v[76:79], v[76:77], off offset:592
	global_load_dwordx4 v[80:83], v[80:81], off
	s_waitcnt vmcnt(9)
	v_mul_f64 v[84:85], v[46:47], v[30:31]
	v_mul_f64 v[30:31], v[44:45], v[30:31]
	s_waitcnt vmcnt(8)
	v_mul_f64 v[86:87], v[50:51], v[34:35]
	v_mul_f64 v[34:35], v[48:49], v[34:35]
	s_waitcnt vmcnt(7)
	v_mul_f64 v[88:89], v[54:55], v[38:39]
	v_mul_f64 v[38:39], v[52:53], v[38:39]
	s_waitcnt vmcnt(6)
	v_mul_f64 v[90:91], v[58:59], v[42:43]
	v_mul_f64 v[92:93], v[56:57], v[42:43]
	s_waitcnt vmcnt(4)
	v_mul_f64 v[94:95], v[62:63], v[66:67]
	v_mul_f64 v[66:67], v[60:61], v[66:67]
	s_waitcnt vmcnt(2)
	v_mul_f64 v[96:97], v[70:71], v[74:75]
	v_mul_f64 v[74:75], v[68:69], v[74:75]
	s_waitcnt vmcnt(0)
	v_mul_f64 v[98:99], v[82:83], v[78:79]
	v_mul_f64 v[78:79], v[80:81], v[78:79]
	v_fma_f64 v[42:43], v[44:45], v[28:29], v[84:85]
	v_fma_f64 v[44:45], v[46:47], v[28:29], -v[30:31]
	v_fma_f64 v[28:29], v[48:49], v[32:33], v[86:87]
	v_fma_f64 v[30:31], v[50:51], v[32:33], -v[34:35]
	;; [unrolled: 2-line block ×7, first 2 shown]
	ds_write_b128 v167, v[42:45] offset:1008
	ds_write_b128 v167, v[28:31] offset:2304
	ds_write_b128 v167, v[32:35] offset:3600
	ds_write_b128 v167, v[36:39] offset:4896
	ds_write_b128 v167, v[46:49] offset:6192
	ds_write_b128 v167, v[50:53] offset:7488
	ds_write_b128 v167, v[54:57] offset:8784
.LBB0_3:
	s_or_b32 exec_lo, exec_lo, s12
	s_waitcnt lgkmcnt(0)
	s_barrier
	buffer_gl0_inv
	ds_read_b128 v[32:35], v167
	ds_read_b128 v[72:75], v167 offset:1296
	ds_read_b128 v[68:71], v167 offset:2592
	;; [unrolled: 1-line block ×6, first 2 shown]
	s_load_dwordx2 s[4:5], s[4:5], 0x8
                                        ; implicit-def: $vgpr28_vgpr29
                                        ; implicit-def: $vgpr36_vgpr37
                                        ; implicit-def: $vgpr40_vgpr41
                                        ; implicit-def: $vgpr44_vgpr45
                                        ; implicit-def: $vgpr48_vgpr49
                                        ; implicit-def: $vgpr52_vgpr53
                                        ; implicit-def: $vgpr56_vgpr57
	s_and_saveexec_b32 s0, vcc_lo
	s_cbranch_execz .LBB0_5
; %bb.4:
	ds_read_b128 v[28:31], v167 offset:1008
	ds_read_b128 v[36:39], v167 offset:2304
	;; [unrolled: 1-line block ×7, first 2 shown]
.LBB0_5:
	s_or_b32 exec_lo, exec_lo, s0
	s_waitcnt lgkmcnt(0)
	v_add_f64 v[84:85], v[72:73], v[80:81]
	v_add_f64 v[86:87], v[74:75], v[82:83]
	;; [unrolled: 1-line block ×4, first 2 shown]
	v_add_f64 v[72:73], v[72:73], -v[80:81]
	v_add_f64 v[74:75], v[74:75], -v[82:83]
	;; [unrolled: 1-line block ×4, first 2 shown]
	v_add_f64 v[76:77], v[60:61], v[64:65]
	v_add_f64 v[78:79], v[62:63], v[66:67]
	v_add_f64 v[60:61], v[64:65], -v[60:61]
	v_add_f64 v[62:63], v[66:67], -v[62:63]
	v_add_f64 v[80:81], v[36:37], v[56:57]
	v_add_f64 v[82:83], v[38:39], v[58:59]
	v_add_f64 v[36:37], v[36:37], -v[56:57]
	v_add_f64 v[38:39], v[38:39], -v[58:59]
	;; [unrolled: 4-line block ×4, first 2 shown]
	v_add_f64 v[64:65], v[88:89], v[84:85]
	v_add_f64 v[66:67], v[90:91], v[86:87]
	v_add_f64 v[50:51], v[88:89], -v[84:85]
	s_mov_b32 s12, 0x37e14327
	s_mov_b32 s0, 0x36b3c0b5
	;; [unrolled: 1-line block ×3, first 2 shown]
	v_add_f64 v[40:41], v[84:85], -v[76:77]
	v_add_f64 v[42:43], v[86:87], -v[78:79]
	;; [unrolled: 1-line block ×5, first 2 shown]
	v_add_f64 v[84:85], v[60:61], v[68:69]
	s_mov_b32 s13, 0x3fe948f6
	s_mov_b32 s1, 0x3fac98ee
	v_add_f64 v[88:89], v[56:57], v[80:81]
	s_mov_b32 s15, 0xbfe11646
	v_add_f64 v[60:61], v[72:73], -v[60:61]
	v_add_f64 v[68:69], v[68:69], -v[72:73]
	v_add_f64 v[108:109], v[80:81], -v[92:93]
	v_add_f64 v[110:111], v[98:99], -v[58:59]
	v_add_f64 v[112:113], v[44:45], -v[52:53]
	v_add_f64 v[114:115], v[46:47], -v[54:55]
	v_add_f64 v[64:65], v[76:77], v[64:65]
	v_add_f64 v[66:67], v[78:79], v[66:67]
	v_add_f64 v[76:77], v[62:63], -v[70:71]
	v_add_f64 v[78:79], v[90:91], -v[86:87]
	v_add_f64 v[86:87], v[62:63], v[70:71]
	v_add_f64 v[90:91], v[58:59], v[82:83]
	v_add_f64 v[62:63], v[74:75], -v[62:63]
	v_add_f64 v[70:71], v[70:71], -v[74:75]
	v_mul_f64 v[100:101], v[40:41], s[12:13]
	v_mul_f64 v[102:103], v[42:43], s[12:13]
	;; [unrolled: 1-line block ×4, first 2 shown]
	v_add_f64 v[116:117], v[52:53], -v[36:37]
	v_add_f64 v[118:119], v[54:55], -v[38:39]
	v_add_f64 v[72:73], v[84:85], v[72:73]
	v_add_f64 v[84:85], v[92:93], v[88:89]
	s_mov_b32 s6, 0x429ad128
	s_mov_b32 s16, 0xaaaaaaaa
	;; [unrolled: 1-line block ×6, first 2 shown]
	v_add_f64 v[40:41], v[32:33], v[64:65]
	v_add_f64 v[42:43], v[34:35], v[66:67]
	v_add_f64 v[32:33], v[82:83], -v[98:99]
	v_mul_f64 v[34:35], v[48:49], s[14:15]
	v_mul_f64 v[48:49], v[76:77], s[14:15]
	v_add_f64 v[76:77], v[92:93], -v[56:57]
	v_add_f64 v[74:75], v[86:87], v[74:75]
	v_add_f64 v[86:87], v[98:99], v[90:91]
	s_mov_b32 s21, 0x3fe77f67
	s_mov_b32 s23, 0xbfe77f67
	;; [unrolled: 1-line block ×4, first 2 shown]
	v_mul_f64 v[88:89], v[68:69], s[6:7]
	v_mul_f64 v[90:91], v[70:71], s[6:7]
	v_fma_f64 v[92:93], v[94:95], s[0:1], v[100:101]
	v_fma_f64 v[94:95], v[96:97], s[0:1], v[102:103]
	v_fma_f64 v[96:97], v[50:51], s[20:21], -v[104:105]
	v_fma_f64 v[98:99], v[78:79], s[20:21], -v[106:107]
	;; [unrolled: 1-line block ×4, first 2 shown]
	v_add_f64 v[56:57], v[56:57], -v[80:81]
	v_add_f64 v[58:59], v[58:59], -v[82:83]
	v_fma_f64 v[64:65], v[64:65], s[16:17], v[40:41]
	v_fma_f64 v[66:67], v[66:67], s[16:17], v[42:43]
	v_add_f64 v[52:53], v[44:45], v[52:53]
	v_fma_f64 v[100:101], v[60:61], s[18:19], v[34:35]
	v_fma_f64 v[34:35], v[68:69], s[6:7], -v[34:35]
	v_add_f64 v[54:55], v[46:47], v[54:55]
	v_add_f64 v[44:45], v[36:37], -v[44:45]
	v_add_f64 v[46:47], v[38:39], -v[46:47]
	v_add_f64 v[28:29], v[28:29], v[84:85]
	v_add_f64 v[30:31], v[30:31], v[86:87]
	v_mul_f64 v[68:69], v[76:77], s[0:1]
	v_mul_f64 v[80:81], v[110:111], s[0:1]
	;; [unrolled: 1-line block ×8, first 2 shown]
	s_mov_b32 s25, 0xbfd5d0dc
	s_mov_b32 s24, s18
	v_fma_f64 v[102:103], v[62:63], s[18:19], v[48:49]
	v_fma_f64 v[48:49], v[70:71], s[6:7], -v[48:49]
	v_fma_f64 v[60:61], v[60:61], s[24:25], -v[88:89]
	;; [unrolled: 1-line block ×3, first 2 shown]
	v_add_f64 v[70:71], v[92:93], v[64:65]
	v_add_f64 v[88:89], v[94:95], v[66:67]
	;; [unrolled: 1-line block ×8, first 2 shown]
	v_fma_f64 v[36:37], v[84:85], s[16:17], v[28:29]
	v_fma_f64 v[52:53], v[86:87], s[16:17], v[30:31]
	v_fma_f64 v[54:55], v[56:57], s[20:21], -v[68:69]
	v_fma_f64 v[68:69], v[58:59], s[20:21], -v[80:81]
	;; [unrolled: 1-line block ×8, first 2 shown]
	v_fma_f64 v[76:77], v[76:77], s[0:1], v[82:83]
	v_fma_f64 v[82:83], v[110:111], s[0:1], v[32:33]
	;; [unrolled: 1-line block ×4, first 2 shown]
	s_mov_b32 s6, 0x37c3f68c
	s_mov_b32 s7, 0x3fdc38aa
	v_fma_f64 v[94:95], v[74:75], s[6:7], v[102:103]
	v_fma_f64 v[96:97], v[72:73], s[6:7], v[100:101]
	;; [unrolled: 1-line block ×6, first 2 shown]
	s_barrier
	v_add_f64 v[98:99], v[54:55], v[36:37]
	v_add_f64 v[100:101], v[68:69], v[52:53]
	v_add_f64 v[102:103], v[56:57], v[36:37]
	v_add_f64 v[104:105], v[58:59], v[52:53]
	v_fma_f64 v[78:79], v[38:39], s[6:7], v[78:79]
	v_fma_f64 v[106:107], v[50:51], s[6:7], v[80:81]
	;; [unrolled: 1-line block ×4, first 2 shown]
	v_add_f64 v[32:33], v[76:77], v[36:37]
	v_add_f64 v[36:37], v[82:83], v[52:53]
	v_fma_f64 v[34:35], v[38:39], s[6:7], v[46:47]
	v_fma_f64 v[38:39], v[50:51], s[6:7], v[44:45]
	buffer_gl0_inv
	v_add_f64 v[44:45], v[70:71], v[94:95]
	v_add_f64 v[84:85], v[70:71], -v[94:95]
	v_add_f64 v[48:49], v[64:65], v[62:63]
	v_add_f64 v[50:51], v[66:67], -v[60:61]
	v_add_f64 v[52:53], v[90:91], -v[74:75]
	v_add_f64 v[54:55], v[72:73], v[92:93]
	v_add_f64 v[56:57], v[90:91], v[74:75]
	v_add_f64 v[58:59], v[92:93], -v[72:73]
	v_add_f64 v[80:81], v[64:65], -v[62:63]
	v_add_f64 v[82:83], v[60:61], v[66:67]
	v_add_f64 v[46:47], v[88:89], -v[96:97]
	v_add_f64 v[60:61], v[102:103], v[78:79]
	v_add_f64 v[62:63], v[104:105], -v[106:107]
	v_add_f64 v[64:65], v[98:99], -v[68:69]
	v_add_f64 v[66:67], v[108:109], v[100:101]
	v_add_f64 v[68:69], v[98:99], v[68:69]
	v_add_f64 v[70:71], v[100:101], -v[108:109]
	v_add_f64 v[72:73], v[102:103], -v[78:79]
	v_add_f64 v[74:75], v[106:107], v[104:105]
	v_add_f64 v[76:77], v[32:33], -v[34:35]
	v_add_f64 v[78:79], v[38:39], v[36:37]
	v_add_f64 v[86:87], v[96:97], v[88:89]
	v_mul_lo_u16 v88, v168, 7
	v_mov_b32_e32 v96, 4
	v_add_co_u32 v97, null, v168, 63
	v_lshlrev_b32_sdwa v170, v96, v88 dst_sel:DWORD dst_unused:UNUSED_PAD src0_sel:DWORD src1_sel:WORD_0
	v_mul_u32_u24_e32 v169, 7, v97
	ds_write_b128 v170, v[40:43]
	ds_write_b128 v170, v[44:47] offset:16
	ds_write_b128 v170, v[48:51] offset:32
	;; [unrolled: 1-line block ×6, first 2 shown]
	s_and_saveexec_b32 s0, vcc_lo
	s_cbranch_execz .LBB0_7
; %bb.6:
	v_add_f64 v[36:37], v[36:37], -v[38:39]
	v_add_f64 v[34:35], v[32:33], v[34:35]
	v_lshlrev_b32_e32 v32, 4, v169
	ds_write_b128 v32, v[28:31]
	ds_write_b128 v32, v[60:63] offset:32
	ds_write_b128 v32, v[64:67] offset:48
	;; [unrolled: 1-line block ×6, first 2 shown]
.LBB0_7:
	s_or_b32 exec_lo, exec_lo, s0
	v_and_b32_e32 v28, 0xff, v168
	s_waitcnt lgkmcnt(0)
	s_barrier
	buffer_gl0_inv
	s_mov_b32 s14, 0x8c811c17
	v_mul_lo_u16 v28, v28, 37
	s_mov_b32 s12, 0xa2cf5039
	s_mov_b32 s1, 0x3fe491b7
	;; [unrolled: 1-line block ×4, first 2 shown]
	v_lshrrev_b16 v28, 8, v28
	s_mov_b32 s13, 0x3fe8836f
	s_mov_b32 s16, 0x7e0b738b
	;; [unrolled: 1-line block ×4, first 2 shown]
	v_sub_nc_u16 v29, v168, v28
	s_mov_b32 s6, 0xe8584cab
	v_lshlrev_b32_e32 v97, 5, v97
	v_lshrrev_b16 v29, 1, v29
	v_and_b32_e32 v29, 0x7f, v29
	v_add_nc_u16 v28, v29, v28
	v_lshrrev_b16 v81, 2, v28
	v_mul_lo_u16 v28, v81, 7
	v_sub_nc_u16 v28, v168, v28
	v_and_b32_e32 v80, 0xff, v28
	v_lshlrev_b32_e32 v28, 7, v80
	s_clause 0x7
	global_load_dwordx4 v[40:43], v28, s[4:5]
	global_load_dwordx4 v[36:39], v28, s[4:5] offset:16
	global_load_dwordx4 v[52:55], v28, s[4:5] offset:112
	;; [unrolled: 1-line block ×7, first 2 shown]
	ds_read_b128 v[82:85], v167 offset:1008
	ds_read_b128 v[86:89], v167 offset:2016
	;; [unrolled: 1-line block ×8, first 2 shown]
	ds_read_b128 v[118:121], v167
	s_waitcnt vmcnt(0) lgkmcnt(0)
	s_barrier
	buffer_gl0_inv
	v_mul_f64 v[94:95], v[84:85], v[42:43]
	v_mul_f64 v[122:123], v[82:83], v[42:43]
	;; [unrolled: 1-line block ×12, first 2 shown]
	v_fma_f64 v[82:83], v[82:83], v[40:41], -v[94:95]
	v_fma_f64 v[84:85], v[84:85], v[40:41], v[122:123]
	v_fma_f64 v[86:87], v[86:87], v[36:37], -v[124:125]
	v_fma_f64 v[90:91], v[90:91], v[52:53], -v[126:127]
	v_fma_f64 v[92:93], v[92:93], v[52:53], v[128:129]
	v_fma_f64 v[94:95], v[98:99], v[48:49], -v[130:131]
	v_fma_f64 v[99:100], v[100:101], v[48:49], v[132:133]
	v_fma_f64 v[101:102], v[102:103], v[44:45], -v[134:135]
	v_fma_f64 v[106:107], v[106:107], v[56:57], -v[136:137]
	v_fma_f64 v[108:109], v[108:109], v[56:57], v[138:139]
	v_fma_f64 v[88:89], v[88:89], v[36:37], v[140:141]
	;; [unrolled: 1-line block ×3, first 2 shown]
	v_mul_f64 v[122:123], v[112:113], v[34:35]
	v_mul_f64 v[124:125], v[110:111], v[34:35]
	;; [unrolled: 1-line block ×4, first 2 shown]
	v_add_co_u32 v98, null, 0x7e, v168
	v_and_b32_e32 v105, 0xff, v98
	v_lshlrev_b32_e32 v186, 5, v98
	v_add_f64 v[130:131], v[82:83], -v[90:91]
	v_add_f64 v[132:133], v[84:85], -v[92:93]
	v_add_f64 v[82:83], v[82:83], v[90:91]
	v_add_f64 v[84:85], v[84:85], v[92:93]
	;; [unrolled: 1-line block ×5, first 2 shown]
	v_add_f64 v[136:137], v[94:95], -v[106:107]
	v_add_f64 v[138:139], v[99:100], -v[108:109]
	v_add_f64 v[140:141], v[88:89], v[103:104]
	v_fma_f64 v[110:111], v[110:111], v[32:33], -v[122:123]
	v_fma_f64 v[112:113], v[112:113], v[32:33], v[124:125]
	v_fma_f64 v[114:115], v[114:115], v[28:29], -v[126:127]
	v_fma_f64 v[116:117], v[116:117], v[28:29], v[128:129]
	v_add_f64 v[86:87], v[86:87], -v[101:102]
	v_add_f64 v[88:89], v[88:89], -v[103:104]
	v_mul_lo_u16 v105, v105, 5
	v_lshrrev_b16 v105, 8, v105
	v_mul_f64 v[101:102], v[130:131], s[0:1]
	v_mul_f64 v[103:104], v[132:133], s[0:1]
	v_fma_f64 v[122:123], v[82:83], s[12:13], v[118:119]
	v_fma_f64 v[124:125], v[84:85], s[12:13], v[120:121]
	s_mov_b32 s1, 0xbfe491b7
	v_fma_f64 v[126:127], v[92:93], s[12:13], v[118:119]
	v_fma_f64 v[128:129], v[134:135], s[12:13], v[120:121]
	v_mul_f64 v[142:143], v[136:137], s[14:15]
	v_mul_f64 v[144:145], v[138:139], s[14:15]
	v_fma_f64 v[146:147], v[90:91], s[12:13], v[118:119]
	v_fma_f64 v[148:149], v[140:141], s[12:13], v[120:121]
	v_mul_f64 v[150:151], v[136:137], s[0:1]
	v_mul_f64 v[152:153], v[138:139], s[0:1]
	v_add_f64 v[154:155], v[110:111], v[114:115]
	v_add_f64 v[165:166], v[112:113], v[116:117]
	;; [unrolled: 1-line block ×4, first 2 shown]
	v_add_f64 v[110:111], v[110:111], -v[114:115]
	v_add_f64 v[112:113], v[112:113], -v[116:117]
	s_mov_b32 s13, 0xbfebb67a
	s_mov_b32 s12, s6
	v_fma_f64 v[101:102], v[86:87], s[14:15], v[101:102]
	v_fma_f64 v[103:104], v[88:89], s[14:15], v[103:104]
	;; [unrolled: 1-line block ×6, first 2 shown]
	v_fma_f64 v[126:127], v[86:87], s[0:1], -v[142:143]
	v_fma_f64 v[128:129], v[88:89], s[0:1], -v[144:145]
	v_fma_f64 v[142:143], v[92:93], s[16:17], v[146:147]
	v_fma_f64 v[144:145], v[134:135], s[16:17], v[148:149]
	;; [unrolled: 1-line block ×4, first 2 shown]
	v_add_f64 v[150:151], v[136:137], v[130:131]
	v_add_f64 v[152:153], v[138:139], v[132:133]
	;; [unrolled: 1-line block ×8, first 2 shown]
	s_mov_b32 s0, 0x748a0bf8
	v_fma_f64 v[101:102], v[110:111], s[6:7], v[101:102]
	v_fma_f64 v[103:104], v[112:113], s[6:7], v[103:104]
	v_fma_f64 v[114:115], v[154:155], -0.5, v[114:115]
	v_fma_f64 v[116:117], v[165:166], -0.5, v[116:117]
	s_mov_b32 s14, 0x42522d1b
	v_fma_f64 v[122:123], v[154:155], -0.5, v[122:123]
	v_fma_f64 v[124:125], v[165:166], -0.5, v[124:125]
	v_fma_f64 v[126:127], v[110:111], s[6:7], v[126:127]
	v_fma_f64 v[128:129], v[112:113], s[6:7], v[128:129]
	v_fma_f64 v[142:143], v[154:155], -0.5, v[142:143]
	v_fma_f64 v[144:145], v[165:166], -0.5, v[144:145]
	v_fma_f64 v[110:111], v[110:111], s[12:13], v[146:147]
	v_fma_f64 v[112:113], v[112:113], s[12:13], v[148:149]
	v_add_f64 v[146:147], v[150:151], -v[86:87]
	v_add_f64 v[148:149], v[152:153], -v[88:89]
	s_mov_b32 s1, 0x3fd5e3a8
	v_fma_f64 v[150:151], v[179:180], -0.5, v[175:176]
	s_mov_b32 s15, 0xbfee11f6
	v_add_f64 v[94:95], v[94:95], v[171:172]
	v_add_f64 v[99:100], v[99:100], v[173:174]
	v_fma_f64 v[152:153], v[181:182], -0.5, v[177:178]
	v_fma_f64 v[136:137], v[136:137], s[0:1], v[101:102]
	v_fma_f64 v[138:139], v[138:139], s[0:1], v[103:104]
	;; [unrolled: 1-line block ×12, first 2 shown]
	v_sub_nc_u16 v82, v98, v105
	v_mul_f64 v[110:111], v[148:149], s[6:7]
	v_mul_f64 v[112:113], v[146:147], s[6:7]
	v_lshrrev_b16 v130, 1, v82
	v_fma_f64 v[82:83], v[148:149], s[6:7], v[150:151]
	v_add_f64 v[94:95], v[106:107], v[94:95]
	v_add_f64 v[106:107], v[108:109], v[99:100]
	v_fma_f64 v[84:85], v[146:147], s[12:13], v[152:153]
	v_and_b32_e32 v99, 0x7f, v130
	v_add_f64 v[86:87], v[138:139], v[92:93]
	v_add_f64 v[88:89], v[101:102], -v[136:137]
	v_lshlrev_b32_e32 v152, 5, v168
	s_mov_b32 s6, 0xe8584caa
	v_add_nc_u16 v99, v99, v105
	s_mov_b32 s12, s6
	v_add_f64 v[90:91], v[116:117], v[90:91]
	v_add_f64 v[92:93], v[124:125], -v[122:123]
	v_mov_b32_e32 v124, 63
	v_add_f64 v[100:101], v[126:127], v[103:104]
	v_add_f64 v[102:103], v[114:115], -v[128:129]
	v_lshrrev_b16 v99, 5, v99
	v_mul_u32_u24_sdwa v81, v81, v124 dst_sel:DWORD dst_unused:UNUSED_PAD src0_sel:WORD_0 src1_sel:DWORD
	v_fma_f64 v[104:105], v[110:111], -2.0, v[82:83]
	v_add_f64 v[108:109], v[118:119], v[94:95]
	v_add_f64 v[110:111], v[120:121], v[106:107]
	v_fma_f64 v[106:107], v[112:113], 2.0, v[84:85]
	v_mul_lo_u16 v94, v99, 63
	v_fma_f64 v[112:113], v[138:139], -2.0, v[86:87]
	v_fma_f64 v[114:115], v[136:137], 2.0, v[88:89]
	v_mov_b32_e32 v95, 5
	v_add_lshl_u32 v171, v81, v80, 4
	v_sub_nc_u16 v99, v98, v94
	v_fma_f64 v[116:117], v[116:117], -2.0, v[90:91]
	v_fma_f64 v[118:119], v[122:123], 2.0, v[92:93]
	v_fma_f64 v[120:121], v[126:127], -2.0, v[100:101]
	v_fma_f64 v[122:123], v[128:129], 2.0, v[102:103]
	ds_write_b128 v171, v[82:85] offset:336
	ds_write_b128 v171, v[108:111]
	ds_write_b128 v171, v[86:89] offset:112
	ds_write_b128 v171, v[90:93] offset:448
	;; [unrolled: 1-line block ×7, first 2 shown]
	s_waitcnt lgkmcnt(0)
	s_barrier
	buffer_gl0_inv
	s_clause 0x1
	global_load_dwordx4 v[84:87], v152, s[4:5] offset:896
	global_load_dwordx4 v[80:83], v152, s[4:5] offset:912
	v_lshlrev_b32_sdwa v88, v95, v99 dst_sel:DWORD dst_unused:UNUSED_PAD src0_sel:DWORD src1_sel:BYTE_0
	s_clause 0x1
	global_load_dwordx4 v[92:95], v88, s[4:5] offset:896
	global_load_dwordx4 v[88:91], v88, s[4:5] offset:912
	ds_read_b128 v[100:103], v167 offset:3024
	ds_read_b128 v[104:107], v167 offset:6048
	;; [unrolled: 1-line block ×7, first 2 shown]
	s_waitcnt vmcnt(3) lgkmcnt(6)
	v_mul_f64 v[128:129], v[102:103], v[86:87]
	v_mul_f64 v[130:131], v[100:101], v[86:87]
	s_waitcnt vmcnt(2) lgkmcnt(5)
	v_mul_f64 v[132:133], v[106:107], v[82:83]
	v_mul_f64 v[134:135], v[104:105], v[82:83]
	s_waitcnt lgkmcnt(4)
	v_mul_f64 v[136:137], v[110:111], v[86:87]
	v_mul_f64 v[138:139], v[108:109], v[86:87]
	s_waitcnt lgkmcnt(3)
	v_mul_f64 v[140:141], v[114:115], v[82:83]
	v_mul_f64 v[142:143], v[112:113], v[82:83]
	s_waitcnt vmcnt(1) lgkmcnt(2)
	v_mul_f64 v[144:145], v[118:119], v[94:95]
	v_mul_f64 v[146:147], v[116:117], v[94:95]
	s_waitcnt vmcnt(0) lgkmcnt(1)
	v_mul_f64 v[148:149], v[122:123], v[90:91]
	v_mul_f64 v[150:151], v[120:121], v[90:91]
	v_fma_f64 v[128:129], v[100:101], v[84:85], -v[128:129]
	v_fma_f64 v[130:131], v[102:103], v[84:85], v[130:131]
	v_fma_f64 v[132:133], v[104:105], v[80:81], -v[132:133]
	v_fma_f64 v[134:135], v[106:107], v[80:81], v[134:135]
	;; [unrolled: 2-line block ×6, first 2 shown]
	v_add_co_u32 v148, s0, s4, v152
	v_add_co_ci_u32_e64 v149, null, s5, 0, s0
	v_add_co_u32 v187, s0, s4, v97
	ds_read_b128 v[100:103], v167
	ds_read_b128 v[104:107], v167 offset:1008
	v_add_co_ci_u32_e64 v188, null, s5, 0, s0
	v_add_co_u32 v142, s0, 0xb60, v148
	v_add_co_ci_u32_e64 v143, s0, 0, v149, s0
	v_add_f64 v[97:98], v[128:129], v[132:133]
	v_add_f64 v[136:137], v[130:131], v[134:135]
	v_add_f64 v[152:153], v[130:131], -v[134:135]
	v_add_f64 v[138:139], v[108:109], v[112:113]
	v_add_f64 v[140:141], v[110:111], v[114:115]
	s_waitcnt lgkmcnt(2)
	v_add_f64 v[172:173], v[124:125], v[116:117]
	v_add_f64 v[174:175], v[126:127], v[118:119]
	;; [unrolled: 1-line block ×4, first 2 shown]
	v_add_f64 v[176:177], v[110:111], -v[114:115]
	v_add_f64 v[178:179], v[108:109], -v[112:113]
	;; [unrolled: 1-line block ×3, first 2 shown]
	s_waitcnt lgkmcnt(1)
	v_add_f64 v[150:151], v[100:101], v[128:129]
	v_add_f64 v[130:131], v[102:103], v[130:131]
	s_waitcnt lgkmcnt(0)
	v_add_f64 v[154:155], v[104:105], v[108:109]
	v_add_f64 v[165:166], v[106:107], v[110:111]
	v_add_f64 v[128:129], v[128:129], -v[132:133]
	v_add_f64 v[182:183], v[116:117], -v[120:121]
	v_add_co_u32 v148, s0, 0x800, v148
	v_add_co_ci_u32_e64 v149, s0, 0, v149, s0
	v_fma_f64 v[97:98], v[97:98], -0.5, v[100:101]
	v_fma_f64 v[136:137], v[136:137], -0.5, v[102:103]
	v_add_co_u32 v184, s0, 0xb60, v187
	v_fma_f64 v[138:139], v[138:139], -0.5, v[104:105]
	v_fma_f64 v[140:141], v[140:141], -0.5, v[106:107]
	v_add_f64 v[108:109], v[172:173], v[120:121]
	v_fma_f64 v[144:145], v[144:145], -0.5, v[124:125]
	v_fma_f64 v[146:147], v[146:147], -0.5, v[126:127]
	v_add_f64 v[110:111], v[174:175], v[122:123]
	v_add_co_ci_u32_e64 v185, s0, 0, v188, s0
	v_add_f64 v[100:101], v[150:151], v[132:133]
	v_add_f64 v[102:103], v[130:131], v[134:135]
	v_add_f64 v[104:105], v[154:155], v[112:113]
	v_add_f64 v[106:107], v[165:166], v[114:115]
	v_lshlrev_b32_sdwa v172, v96, v99 dst_sel:DWORD dst_unused:UNUSED_PAD src0_sel:DWORD src1_sel:BYTE_0
	s_barrier
	buffer_gl0_inv
	v_fma_f64 v[112:113], v[152:153], s[6:7], v[97:98]
	v_fma_f64 v[114:115], v[128:129], s[12:13], v[136:137]
	;; [unrolled: 1-line block ×12, first 2 shown]
	v_add_co_u32 v140, s0, s4, v186
	v_add_co_ci_u32_e64 v141, null, s5, 0, s0
	v_add_co_u32 v136, s0, 0x800, v187
	v_add_co_ci_u32_e64 v137, s0, 0, v188, s0
	v_add_co_u32 v138, s0, 0xb60, v140
	v_add_co_ci_u32_e64 v139, s0, 0, v141, s0
	ds_write_b128 v167, v[100:103]
	ds_write_b128 v167, v[104:107] offset:3024
	ds_write_b128 v167, v[112:115] offset:1008
	;; [unrolled: 1-line block ×8, first 2 shown]
	v_add_co_u32 v112, s0, 0x800, v140
	s_waitcnt lgkmcnt(0)
	s_barrier
	buffer_gl0_inv
	s_clause 0x1
	global_load_dwordx4 v[96:99], v[148:149], off offset:864
	global_load_dwordx4 v[100:103], v[142:143], off offset:16
	v_add_co_ci_u32_e64 v113, s0, 0, v141, s0
	s_clause 0x3
	global_load_dwordx4 v[104:107], v[136:137], off offset:864
	global_load_dwordx4 v[108:111], v[184:185], off offset:16
	;; [unrolled: 1-line block ×4, first 2 shown]
	ds_read_b128 v[120:123], v167 offset:3024
	ds_read_b128 v[124:127], v167 offset:6048
	;; [unrolled: 1-line block ×7, first 2 shown]
	s_waitcnt vmcnt(5) lgkmcnt(6)
	v_mul_f64 v[148:149], v[122:123], v[98:99]
	s_waitcnt vmcnt(4) lgkmcnt(5)
	v_mul_f64 v[150:151], v[126:127], v[102:103]
	v_mul_f64 v[152:153], v[120:121], v[98:99]
	v_mul_f64 v[154:155], v[124:125], v[102:103]
	s_waitcnt vmcnt(3) lgkmcnt(4)
	v_mul_f64 v[165:166], v[130:131], v[106:107]
	s_waitcnt vmcnt(2) lgkmcnt(3)
	v_mul_f64 v[173:174], v[134:135], v[110:111]
	v_mul_f64 v[175:176], v[128:129], v[106:107]
	v_mul_f64 v[177:178], v[132:133], v[110:111]
	;; [unrolled: 6-line block ×3, first 2 shown]
	v_fma_f64 v[148:149], v[120:121], v[96:97], -v[148:149]
	v_fma_f64 v[150:151], v[124:125], v[100:101], -v[150:151]
	v_fma_f64 v[152:153], v[122:123], v[96:97], v[152:153]
	v_fma_f64 v[154:155], v[126:127], v[100:101], v[154:155]
	v_fma_f64 v[128:129], v[128:129], v[104:105], -v[165:166]
	v_fma_f64 v[173:174], v[132:133], v[108:109], -v[173:174]
	v_fma_f64 v[130:131], v[130:131], v[104:105], v[175:176]
	v_fma_f64 v[175:176], v[134:135], v[108:109], v[177:178]
	;; [unrolled: 4-line block ×3, first 2 shown]
	ds_read_b128 v[120:123], v167
	ds_read_b128 v[124:127], v167 offset:1008
	v_add_f64 v[136:137], v[148:149], v[150:151]
	v_add_f64 v[138:139], v[152:153], v[154:155]
	v_add_f64 v[185:186], v[152:153], -v[154:155]
	v_add_f64 v[165:166], v[128:129], v[173:174]
	v_add_f64 v[177:178], v[130:131], v[175:176]
	s_waitcnt lgkmcnt(2)
	v_add_f64 v[191:192], v[144:145], v[132:133]
	v_add_f64 v[179:180], v[132:133], v[140:141]
	s_waitcnt lgkmcnt(1)
	v_add_f64 v[183:184], v[120:121], v[148:149]
	v_add_f64 v[181:182], v[134:135], v[142:143]
	;; [unrolled: 1-line block ×3, first 2 shown]
	s_waitcnt lgkmcnt(0)
	v_add_f64 v[187:188], v[124:125], v[128:129]
	v_add_f64 v[189:190], v[126:127], v[130:131]
	;; [unrolled: 1-line block ×3, first 2 shown]
	v_add_f64 v[148:149], v[148:149], -v[150:151]
	v_add_f64 v[195:196], v[130:131], -v[175:176]
	;; [unrolled: 1-line block ×4, first 2 shown]
	v_fma_f64 v[120:121], v[136:137], -0.5, v[120:121]
	v_fma_f64 v[122:123], v[138:139], -0.5, v[122:123]
	;; [unrolled: 1-line block ×3, first 2 shown]
	v_add_co_u32 v165, s0, 0x2000, v158
	v_fma_f64 v[126:127], v[177:178], -0.5, v[126:127]
	v_add_f64 v[177:178], v[134:135], -v[142:143]
	v_fma_f64 v[179:180], v[179:180], -0.5, v[144:145]
	v_fma_f64 v[181:182], v[181:182], -0.5, v[146:147]
	v_add_f64 v[130:131], v[183:184], v[150:151]
	v_add_f64 v[132:133], v[152:153], v[154:155]
	;; [unrolled: 1-line block ×6, first 2 shown]
	v_add_co_ci_u32_e64 v166, s0, 0, v159, s0
	v_fma_f64 v[142:143], v[185:186], s[6:7], v[120:121]
	v_fma_f64 v[146:147], v[185:186], s[12:13], v[120:121]
	v_fma_f64 v[144:145], v[148:149], s[12:13], v[122:123]
	v_fma_f64 v[148:149], v[148:149], s[6:7], v[122:123]
	v_fma_f64 v[150:151], v[195:196], s[6:7], v[124:125]
	v_fma_f64 v[173:174], v[195:196], s[12:13], v[124:125]
	v_fma_f64 v[152:153], v[128:129], s[12:13], v[126:127]
	v_fma_f64 v[175:176], v[128:129], s[6:7], v[126:127]
	v_fma_f64 v[120:121], v[177:178], s[6:7], v[179:180]
	v_fma_f64 v[122:123], v[197:198], s[12:13], v[181:182]
	v_fma_f64 v[124:125], v[177:178], s[12:13], v[179:180]
	v_fma_f64 v[126:127], v[197:198], s[6:7], v[181:182]
	v_add_co_u32 v128, s0, 0x2370, v158
	v_add_co_ci_u32_e64 v129, s0, 0, v159, s0
	v_add_co_u32 v154, s0, 0x2800, v158
	v_add_co_ci_u32_e64 v155, s0, 0, v159, s0
	;; [unrolled: 2-line block ×4, first 2 shown]
	ds_write_b128 v167, v[130:133]
	ds_write_b128 v167, v[134:137] offset:1008
	ds_write_b128 v167, v[138:141] offset:2016
	;; [unrolled: 1-line block ×8, first 2 shown]
	s_waitcnt lgkmcnt(0)
	s_barrier
	buffer_gl0_inv
	s_clause 0x3
	global_load_dwordx4 v[130:133], v[165:166], off offset:880
	global_load_dwordx4 v[134:137], v[128:129], off offset:1296
	;; [unrolled: 1-line block ×4, first 2 shown]
	v_add_co_u32 v154, s0, 0x4000, v158
	v_add_co_ci_u32_e64 v155, s0, 0, v159, s0
	s_clause 0x2
	global_load_dwordx4 v[146:149], v[177:178], off offset:1968
	global_load_dwordx4 v[150:153], v[179:180], off offset:1216
	global_load_dwordx4 v[173:176], v[154:155], off offset:464
	ds_read_b128 v[177:180], v167
	ds_read_b128 v[181:184], v167 offset:1296
	ds_read_b128 v[185:188], v167 offset:2592
	ds_read_b128 v[189:192], v167 offset:3888
	ds_read_b128 v[193:196], v167 offset:5184
	ds_read_b128 v[197:200], v167 offset:6480
	ds_read_b128 v[201:204], v167 offset:7776
	s_waitcnt vmcnt(6) lgkmcnt(6)
	v_mul_f64 v[154:155], v[179:180], v[132:133]
	v_mul_f64 v[132:133], v[177:178], v[132:133]
	s_waitcnt vmcnt(5) lgkmcnt(5)
	v_mul_f64 v[205:206], v[183:184], v[136:137]
	v_mul_f64 v[136:137], v[181:182], v[136:137]
	;; [unrolled: 3-line block ×7, first 2 shown]
	v_fma_f64 v[152:153], v[177:178], v[130:131], -v[154:155]
	v_fma_f64 v[154:155], v[179:180], v[130:131], v[132:133]
	v_fma_f64 v[130:131], v[181:182], v[134:135], -v[205:206]
	v_fma_f64 v[132:133], v[183:184], v[134:135], v[136:137]
	;; [unrolled: 2-line block ×7, first 2 shown]
	ds_write_b128 v167, v[152:155]
	ds_write_b128 v167, v[130:133] offset:1296
	ds_write_b128 v167, v[134:137] offset:2592
	;; [unrolled: 1-line block ×6, first 2 shown]
	s_and_saveexec_b32 s1, vcc_lo
	s_cbranch_execz .LBB0_9
; %bb.8:
	v_add_co_u32 v138, s0, 0x800, v128
	v_add_co_ci_u32_e64 v139, s0, 0, v129, s0
	v_add_co_u32 v142, s0, 0x1000, v128
	v_add_co_ci_u32_e64 v143, s0, 0, v129, s0
	;; [unrolled: 2-line block ×3, first 2 shown]
	s_clause 0x3
	global_load_dwordx4 v[130:133], v[128:129], off offset:1008
	global_load_dwordx4 v[134:137], v[138:139], off offset:256
	;; [unrolled: 1-line block ×4, first 2 shown]
	v_add_co_u32 v128, s0, 0x2000, v128
	v_add_co_ci_u32_e64 v129, s0, 0, v129, s0
	s_clause 0x2
	global_load_dwordx4 v[146:149], v[150:151], off offset:48
	global_load_dwordx4 v[150:153], v[150:151], off offset:1344
	;; [unrolled: 1-line block ×3, first 2 shown]
	ds_read_b128 v[177:180], v167 offset:1008
	ds_read_b128 v[181:184], v167 offset:2304
	;; [unrolled: 1-line block ×7, first 2 shown]
	s_waitcnt vmcnt(6) lgkmcnt(6)
	v_mul_f64 v[128:129], v[179:180], v[132:133]
	v_mul_f64 v[132:133], v[177:178], v[132:133]
	s_waitcnt vmcnt(5) lgkmcnt(5)
	v_mul_f64 v[154:155], v[183:184], v[136:137]
	v_mul_f64 v[136:137], v[181:182], v[136:137]
	;; [unrolled: 3-line block ×7, first 2 shown]
	v_fma_f64 v[128:129], v[177:178], v[130:131], -v[128:129]
	v_fma_f64 v[130:131], v[179:180], v[130:131], v[132:133]
	v_fma_f64 v[132:133], v[181:182], v[134:135], -v[154:155]
	v_fma_f64 v[134:135], v[183:184], v[134:135], v[136:137]
	;; [unrolled: 2-line block ×7, first 2 shown]
	ds_write_b128 v167, v[128:131] offset:1008
	ds_write_b128 v167, v[132:135] offset:2304
	ds_write_b128 v167, v[136:139] offset:3600
	ds_write_b128 v167, v[140:143] offset:4896
	ds_write_b128 v167, v[144:147] offset:6192
	ds_write_b128 v167, v[148:151] offset:7488
	ds_write_b128 v167, v[152:155] offset:8784
.LBB0_9:
	s_or_b32 exec_lo, exec_lo, s1
	s_waitcnt lgkmcnt(0)
	s_barrier
	buffer_gl0_inv
	ds_read_b128 v[128:131], v167
	ds_read_b128 v[132:135], v167 offset:1296
	ds_read_b128 v[148:151], v167 offset:2592
	;; [unrolled: 1-line block ×6, first 2 shown]
	s_and_saveexec_b32 s0, vcc_lo
	s_cbranch_execz .LBB0_11
; %bb.10:
	ds_read_b128 v[120:123], v167 offset:1008
	ds_read_b128 v[124:127], v167 offset:2304
	;; [unrolled: 1-line block ×7, first 2 shown]
.LBB0_11:
	s_or_b32 exec_lo, exec_lo, s0
	s_waitcnt lgkmcnt(0)
	v_add_f64 v[173:174], v[132:133], v[144:145]
	v_add_f64 v[175:176], v[134:135], v[146:147]
	;; [unrolled: 1-line block ×4, first 2 shown]
	v_add_f64 v[148:149], v[148:149], -v[152:153]
	v_add_f64 v[150:151], v[150:151], -v[154:155]
	v_add_f64 v[152:153], v[136:137], v[140:141]
	v_add_f64 v[154:155], v[138:139], v[142:143]
	v_add_f64 v[136:137], v[140:141], -v[136:137]
	v_add_f64 v[138:139], v[142:143], -v[138:139]
	;; [unrolled: 1-line block ×4, first 2 shown]
	s_mov_b32 s6, 0x37e14327
	s_mov_b32 s14, 0xe976ee23
	;; [unrolled: 1-line block ×12, first 2 shown]
	v_add_f64 v[140:141], v[177:178], v[173:174]
	v_add_f64 v[142:143], v[179:180], v[175:176]
	s_mov_b32 s21, 0xbfd5d0dc
	s_mov_b32 s17, 0x3fe77f67
	v_add_f64 v[144:145], v[173:174], -v[152:153]
	v_add_f64 v[146:147], v[175:176], -v[154:155]
	;; [unrolled: 1-line block ×6, first 2 shown]
	v_add_f64 v[148:149], v[136:137], v[148:149]
	v_add_f64 v[150:151], v[138:139], v[150:151]
	v_add_f64 v[136:137], v[132:133], -v[136:137]
	v_add_f64 v[138:139], v[134:135], -v[138:139]
	;; [unrolled: 1-line block ×4, first 2 shown]
	s_mov_b32 s19, 0xbfe77f67
	s_mov_b32 s23, 0x3fd5d0dc
	;; [unrolled: 1-line block ×6, first 2 shown]
	v_add_f64 v[140:141], v[152:153], v[140:141]
	v_add_f64 v[142:143], v[154:155], v[142:143]
	v_add_f64 v[152:153], v[152:153], -v[177:178]
	v_add_f64 v[154:155], v[154:155], -v[179:180]
	v_mul_f64 v[144:145], v[144:145], s[6:7]
	v_mul_f64 v[146:147], v[146:147], s[6:7]
	;; [unrolled: 1-line block ×6, first 2 shown]
	v_add_f64 v[132:133], v[148:149], v[132:133]
	v_add_f64 v[134:135], v[150:151], v[134:135]
	s_barrier
	buffer_gl0_inv
	v_add_f64 v[128:129], v[128:129], v[140:141]
	v_add_f64 v[130:131], v[130:131], v[142:143]
	v_mul_f64 v[177:178], v[152:153], s[4:5]
	v_mul_f64 v[179:180], v[154:155], s[4:5]
	v_fma_f64 v[148:149], v[152:153], s[4:5], v[144:145]
	v_fma_f64 v[150:151], v[154:155], s[4:5], v[146:147]
	v_fma_f64 v[152:153], v[136:137], s[20:21], v[181:182]
	v_fma_f64 v[154:155], v[138:139], s[20:21], v[183:184]
	v_fma_f64 v[181:182], v[185:186], s[0:1], -v[181:182]
	v_fma_f64 v[183:184], v[187:188], s[0:1], -v[183:184]
	v_fma_f64 v[136:137], v[136:137], s[22:23], -v[189:190]
	v_fma_f64 v[138:139], v[138:139], s[22:23], -v[191:192]
	v_fma_f64 v[144:145], v[173:174], s[18:19], -v[144:145]
	v_fma_f64 v[146:147], v[175:176], s[18:19], -v[146:147]
	v_fma_f64 v[140:141], v[140:141], s[12:13], v[128:129]
	v_fma_f64 v[142:143], v[142:143], s[12:13], v[130:131]
	v_fma_f64 v[173:174], v[173:174], s[16:17], -v[177:178]
	v_fma_f64 v[175:176], v[175:176], s[16:17], -v[179:180]
	v_fma_f64 v[177:178], v[132:133], s[24:25], v[152:153]
	v_fma_f64 v[152:153], v[134:135], s[24:25], v[154:155]
	v_fma_f64 v[154:155], v[132:133], s[24:25], v[181:182]
	v_fma_f64 v[179:180], v[134:135], s[24:25], v[183:184]
	v_fma_f64 v[181:182], v[132:133], s[24:25], v[136:137]
	v_fma_f64 v[183:184], v[134:135], s[24:25], v[138:139]
	v_add_f64 v[185:186], v[148:149], v[140:141]
	v_add_f64 v[187:188], v[150:151], v[142:143]
	;; [unrolled: 1-line block ×7, first 2 shown]
	v_add_f64 v[134:135], v[187:188], -v[177:178]
	v_add_f64 v[136:137], v[148:149], v[183:184]
	v_add_f64 v[138:139], v[150:151], -v[181:182]
	v_add_f64 v[140:141], v[144:145], -v[179:180]
	v_add_f64 v[142:143], v[154:155], v[146:147]
	v_add_f64 v[144:145], v[144:145], v[179:180]
	v_add_f64 v[146:147], v[146:147], -v[154:155]
	v_add_f64 v[148:149], v[148:149], -v[183:184]
	v_add_f64 v[150:151], v[181:182], v[150:151]
	v_add_f64 v[152:153], v[185:186], -v[152:153]
	v_add_f64 v[154:155], v[177:178], v[187:188]
	ds_write_b128 v170, v[128:131]
	ds_write_b128 v170, v[132:135] offset:16
	ds_write_b128 v170, v[136:139] offset:32
	;; [unrolled: 1-line block ×6, first 2 shown]
	s_and_saveexec_b32 s26, vcc_lo
	s_cbranch_execz .LBB0_13
; %bb.12:
	v_add_f64 v[128:129], v[126:127], v[78:79]
	v_add_f64 v[130:131], v[62:63], v[74:75]
	;; [unrolled: 1-line block ×4, first 2 shown]
	v_add_f64 v[136:137], v[68:69], -v[64:65]
	v_add_f64 v[60:61], v[60:61], -v[72:73]
	v_add_f64 v[72:73], v[66:67], v[70:71]
	v_add_f64 v[64:65], v[64:65], v[68:69]
	v_add_f64 v[68:69], v[124:125], -v[76:77]
	v_add_f64 v[66:67], v[70:71], -v[66:67]
	v_add_f64 v[62:63], v[62:63], -v[74:75]
	v_add_f64 v[70:71], v[126:127], -v[78:79]
	v_add_f64 v[76:77], v[130:131], v[128:129]
	v_add_f64 v[74:75], v[134:135], v[132:133]
	v_add_f64 v[78:79], v[136:137], -v[60:61]
	v_add_f64 v[124:125], v[128:129], -v[72:73]
	;; [unrolled: 1-line block ×7, first 2 shown]
	v_add_f64 v[136:137], v[136:137], v[60:61]
	v_add_f64 v[146:147], v[66:67], v[62:63]
	v_add_f64 v[66:67], v[70:71], -v[66:67]
	v_add_f64 v[76:77], v[72:73], v[76:77]
	v_add_f64 v[72:73], v[72:73], -v[130:131]
	;; [unrolled: 2-line block ×3, first 2 shown]
	v_mul_f64 v[78:79], v[78:79], s[14:15]
	v_mul_f64 v[124:125], v[124:125], s[6:7]
	;; [unrolled: 1-line block ×4, first 2 shown]
	v_add_f64 v[68:69], v[136:137], v[68:69]
	v_add_f64 v[70:71], v[146:147], v[70:71]
	;; [unrolled: 1-line block ×3, first 2 shown]
	v_add_f64 v[122:123], v[130:131], -v[128:129]
	v_mul_f64 v[128:129], v[72:73], s[4:5]
	v_mul_f64 v[130:131], v[140:141], s[14:15]
	v_add_f64 v[60:61], v[120:121], v[74:75]
	v_mul_f64 v[140:141], v[142:143], s[0:1]
	v_add_f64 v[120:121], v[134:135], -v[132:133]
	v_mul_f64 v[132:133], v[64:65], s[4:5]
	v_fma_f64 v[134:135], v[144:145], s[20:21], v[78:79]
	v_fma_f64 v[72:73], v[72:73], s[4:5], v[124:125]
	;; [unrolled: 1-line block ×3, first 2 shown]
	v_fma_f64 v[136:137], v[144:145], s[22:23], -v[148:149]
	v_fma_f64 v[78:79], v[138:139], s[0:1], -v[78:79]
	v_fma_f64 v[76:77], v[76:77], s[12:13], v[62:63]
	v_fma_f64 v[124:125], v[122:123], s[18:19], -v[124:125]
	v_fma_f64 v[122:123], v[122:123], s[16:17], -v[128:129]
	v_fma_f64 v[128:129], v[66:67], s[20:21], v[130:131]
	v_fma_f64 v[74:75], v[74:75], s[12:13], v[60:61]
	v_fma_f64 v[66:67], v[66:67], s[22:23], -v[140:141]
	v_fma_f64 v[126:127], v[120:121], s[18:19], -v[126:127]
	;; [unrolled: 1-line block ×4, first 2 shown]
	v_fma_f64 v[132:133], v[68:69], s[24:25], v[134:135]
	v_fma_f64 v[134:135], v[68:69], s[24:25], v[136:137]
	;; [unrolled: 1-line block ×3, first 2 shown]
	v_add_f64 v[72:73], v[72:73], v[76:77]
	v_add_f64 v[124:125], v[124:125], v[76:77]
	;; [unrolled: 1-line block ×3, first 2 shown]
	v_fma_f64 v[128:129], v[70:71], s[24:25], v[128:129]
	v_add_f64 v[64:65], v[64:65], v[74:75]
	v_fma_f64 v[136:137], v[70:71], s[24:25], v[66:67]
	v_add_f64 v[138:139], v[126:127], v[74:75]
	v_fma_f64 v[130:131], v[70:71], s[24:25], v[130:131]
	v_add_f64 v[140:141], v[120:121], v[74:75]
	v_add_f64 v[126:127], v[72:73], -v[132:133]
	v_add_f64 v[70:71], v[134:135], v[124:125]
	v_add_f64 v[122:123], v[124:125], -v[134:135]
	v_add_f64 v[74:75], v[76:77], -v[68:69]
	v_add_f64 v[124:125], v[64:65], v[128:129]
	v_add_f64 v[78:79], v[68:69], v[76:77]
	;; [unrolled: 1-line block ×4, first 2 shown]
	v_add_f64 v[76:77], v[140:141], -v[130:131]
	v_add_f64 v[72:73], v[140:141], v[130:131]
	v_add_f64 v[68:69], v[138:139], -v[136:137]
	v_add_f64 v[64:65], v[64:65], -v[128:129]
	v_lshlrev_b32_e32 v128, 4, v169
	ds_write_b128 v128, v[60:63]
	ds_write_b128 v128, v[124:127] offset:16
	ds_write_b128 v128, v[120:123] offset:32
	;; [unrolled: 1-line block ×6, first 2 shown]
.LBB0_13:
	s_or_b32 exec_lo, exec_lo, s26
	s_waitcnt lgkmcnt(0)
	s_barrier
	buffer_gl0_inv
	ds_read_b128 v[60:63], v167 offset:1008
	ds_read_b128 v[64:67], v167 offset:8064
	;; [unrolled: 1-line block ×8, first 2 shown]
	s_mov_b32 s6, 0x8c811c17
	s_mov_b32 s0, 0xa2cf5039
	;; [unrolled: 1-line block ×8, first 2 shown]
	s_waitcnt lgkmcnt(7)
	v_mul_f64 v[132:133], v[42:43], v[62:63]
	v_mul_f64 v[42:43], v[42:43], v[60:61]
	s_waitcnt lgkmcnt(6)
	v_mul_f64 v[134:135], v[54:55], v[66:67]
	v_mul_f64 v[54:55], v[54:55], v[64:65]
	;; [unrolled: 3-line block ×6, first 2 shown]
	v_fma_f64 v[60:61], v[40:41], v[60:61], v[132:133]
	v_fma_f64 v[40:41], v[40:41], v[62:63], -v[42:43]
	v_fma_f64 v[42:43], v[52:53], v[64:65], v[134:135]
	v_fma_f64 v[52:53], v[52:53], v[66:67], -v[54:55]
	;; [unrolled: 2-line block ×6, first 2 shown]
	s_waitcnt lgkmcnt(1)
	v_mul_f64 v[46:47], v[34:35], v[126:127]
	v_mul_f64 v[64:65], v[34:35], v[124:125]
	ds_read_b128 v[34:37], v167
	s_waitcnt lgkmcnt(1)
	v_mul_f64 v[66:67], v[30:31], v[130:131]
	v_mul_f64 v[30:31], v[30:31], v[128:129]
	s_waitcnt lgkmcnt(0)
	s_barrier
	buffer_gl0_inv
	v_add_f64 v[68:69], v[60:61], -v[42:43]
	v_add_f64 v[70:71], v[40:41], -v[52:53]
	v_add_f64 v[42:43], v[60:61], v[42:43]
	v_add_f64 v[40:41], v[40:41], v[52:53]
	;; [unrolled: 1-line block ×4, first 2 shown]
	v_add_f64 v[72:73], v[54:55], -v[50:51]
	v_add_f64 v[74:75], v[48:49], -v[56:57]
	v_add_f64 v[76:77], v[58:59], v[62:63]
	v_add_f64 v[78:79], v[38:39], v[44:45]
	v_fma_f64 v[46:47], v[32:33], v[124:125], v[46:47]
	v_fma_f64 v[32:33], v[32:33], v[126:127], -v[64:65]
	v_add_f64 v[38:39], v[38:39], -v[44:45]
	v_fma_f64 v[64:65], v[28:29], v[128:129], v[66:67]
	v_fma_f64 v[28:29], v[28:29], v[130:131], -v[30:31]
	v_add_f64 v[30:31], v[58:59], -v[62:63]
	v_mul_f64 v[44:45], v[68:69], s[4:5]
	v_mul_f64 v[58:59], v[70:71], s[4:5]
	v_fma_f64 v[62:63], v[42:43], s[0:1], v[34:35]
	v_fma_f64 v[66:67], v[40:41], s[0:1], v[36:37]
	s_mov_b32 s5, 0xbfe491b7
	v_fma_f64 v[120:121], v[52:53], s[0:1], v[34:35]
	v_fma_f64 v[122:123], v[60:61], s[0:1], v[36:37]
	v_mul_f64 v[124:125], v[72:73], s[6:7]
	v_mul_f64 v[126:127], v[74:75], s[6:7]
	v_fma_f64 v[128:129], v[76:77], s[0:1], v[34:35]
	v_fma_f64 v[130:131], v[78:79], s[0:1], v[36:37]
	v_mul_f64 v[132:133], v[74:75], s[4:5]
	v_mul_f64 v[134:135], v[72:73], s[4:5]
	v_add_f64 v[136:137], v[46:47], v[64:65]
	v_add_f64 v[138:139], v[32:33], v[28:29]
	;; [unrolled: 1-line block ×4, first 2 shown]
	v_add_f64 v[46:47], v[46:47], -v[64:65]
	v_add_f64 v[28:29], v[32:33], -v[28:29]
	s_mov_b32 s1, 0x3febb67a
	s_mov_b32 s0, 0xe8584cab
	v_fma_f64 v[32:33], v[30:31], s[6:7], v[44:45]
	v_fma_f64 v[44:45], v[38:39], s[6:7], v[58:59]
	;; [unrolled: 1-line block ×6, first 2 shown]
	v_fma_f64 v[120:121], v[30:31], s[4:5], -v[124:125]
	v_fma_f64 v[122:123], v[38:39], s[4:5], -v[126:127]
	v_fma_f64 v[124:125], v[52:53], s[12:13], v[128:129]
	v_fma_f64 v[126:127], v[60:61], s[12:13], v[130:131]
	;; [unrolled: 1-line block ×4, first 2 shown]
	v_add_f64 v[132:133], v[72:73], v[68:69]
	v_add_f64 v[134:135], v[74:75], v[70:71]
	;; [unrolled: 1-line block ×8, first 2 shown]
	s_mov_b32 s5, 0xbfebb67a
	s_mov_b32 s4, s0
	v_fma_f64 v[32:33], v[46:47], s[0:1], v[32:33]
	v_fma_f64 v[44:45], v[28:29], s[0:1], v[44:45]
	v_fma_f64 v[58:59], v[136:137], -0.5, v[58:59]
	v_fma_f64 v[62:63], v[138:139], -0.5, v[62:63]
	;; [unrolled: 1-line block ×4, first 2 shown]
	v_fma_f64 v[120:121], v[46:47], s[0:1], v[120:121]
	v_fma_f64 v[122:123], v[28:29], s[0:1], v[122:123]
	v_fma_f64 v[124:125], v[136:137], -0.5, v[124:125]
	v_fma_f64 v[126:127], v[138:139], -0.5, v[126:127]
	v_fma_f64 v[28:29], v[28:29], s[4:5], v[128:129]
	v_fma_f64 v[46:47], v[46:47], s[4:5], v[130:131]
	s_mov_b32 s6, 0x748a0bf8
	s_mov_b32 s12, 0x42522d1b
	;; [unrolled: 1-line block ×4, first 2 shown]
	v_add_f64 v[54:55], v[54:55], v[140:141]
	v_add_f64 v[48:49], v[48:49], v[142:143]
	v_add_f64 v[128:129], v[132:133], -v[30:31]
	v_add_f64 v[130:131], v[134:135], -v[38:39]
	v_fma_f64 v[132:133], v[148:149], -0.5, v[144:145]
	v_fma_f64 v[134:135], v[150:151], -0.5, v[146:147]
	v_fma_f64 v[72:73], v[72:73], s[6:7], v[32:33]
	v_fma_f64 v[74:75], v[74:75], s[6:7], v[44:45]
	;; [unrolled: 1-line block ×12, first 2 shown]
	v_add_f64 v[50:51], v[50:51], v[54:55]
	v_add_f64 v[54:55], v[56:57], v[48:49]
	v_mul_f64 v[70:71], v[128:129], s[0:1]
	v_mul_f64 v[76:77], v[130:131], s[0:1]
	v_fma_f64 v[28:29], v[130:131], s[4:5], v[132:133]
	v_fma_f64 v[30:31], v[128:129], s[0:1], v[134:135]
	s_mov_b32 s4, 0xe8584caa
	v_add_f64 v[38:39], v[32:33], -v[74:75]
	v_add_f64 v[40:41], v[72:73], v[44:45]
	s_mov_b32 s0, s4
	v_add_f64 v[42:43], v[42:43], -v[62:63]
	v_add_f64 v[44:45], v[60:61], v[64:65]
	v_add_f64 v[46:47], v[52:53], -v[66:67]
	v_add_f64 v[48:49], v[68:69], v[58:59]
	v_add_f64 v[50:51], v[34:35], v[50:51]
	;; [unrolled: 1-line block ×3, first 2 shown]
	v_fma_f64 v[32:33], v[76:77], 2.0, v[28:29]
	v_fma_f64 v[34:35], v[70:71], -2.0, v[30:31]
	v_fma_f64 v[54:55], v[74:75], 2.0, v[38:39]
	v_fma_f64 v[56:57], v[72:73], -2.0, v[40:41]
	;; [unrolled: 2-line block ×4, first 2 shown]
	ds_write_b128 v171, v[28:31] offset:336
	ds_write_b128 v171, v[50:53]
	ds_write_b128 v171, v[38:41] offset:112
	ds_write_b128 v171, v[42:45] offset:448
	;; [unrolled: 1-line block ×7, first 2 shown]
	s_waitcnt lgkmcnt(0)
	s_barrier
	buffer_gl0_inv
	ds_read_b128 v[28:31], v167 offset:3024
	ds_read_b128 v[32:35], v167 offset:6048
	;; [unrolled: 1-line block ×7, first 2 shown]
	s_waitcnt lgkmcnt(6)
	v_mul_f64 v[56:57], v[86:87], v[30:31]
	s_waitcnt lgkmcnt(5)
	v_mul_f64 v[58:59], v[82:83], v[34:35]
	v_mul_f64 v[60:61], v[86:87], v[28:29]
	v_mul_f64 v[62:63], v[82:83], v[32:33]
	s_waitcnt lgkmcnt(4)
	v_mul_f64 v[64:65], v[86:87], v[38:39]
	s_waitcnt lgkmcnt(3)
	v_mul_f64 v[66:67], v[82:83], v[42:43]
	v_mul_f64 v[68:69], v[86:87], v[36:37]
	v_mul_f64 v[70:71], v[82:83], v[40:41]
	;; [unrolled: 6-line block ×3, first 2 shown]
	v_fma_f64 v[56:57], v[84:85], v[28:29], v[56:57]
	v_fma_f64 v[58:59], v[80:81], v[32:33], v[58:59]
	v_fma_f64 v[60:61], v[84:85], v[30:31], -v[60:61]
	v_fma_f64 v[62:63], v[80:81], v[34:35], -v[62:63]
	v_fma_f64 v[36:37], v[84:85], v[36:37], v[64:65]
	v_fma_f64 v[40:41], v[80:81], v[40:41], v[66:67]
	v_fma_f64 v[38:39], v[84:85], v[38:39], -v[68:69]
	v_fma_f64 v[42:43], v[80:81], v[42:43], -v[70:71]
	;; [unrolled: 4-line block ×3, first 2 shown]
	ds_read_b128 v[28:31], v167
	ds_read_b128 v[32:35], v167 offset:1008
	s_waitcnt lgkmcnt(0)
	s_barrier
	buffer_gl0_inv
	v_add_f64 v[64:65], v[56:57], v[58:59]
	v_add_f64 v[66:67], v[60:61], v[62:63]
	v_add_f64 v[78:79], v[60:61], -v[62:63]
	v_add_f64 v[68:69], v[36:37], v[40:41]
	v_add_f64 v[90:91], v[36:37], -v[40:41]
	v_add_f64 v[70:71], v[38:39], v[42:43]
	v_add_f64 v[84:85], v[52:53], v[44:45]
	;; [unrolled: 1-line block ×8, first 2 shown]
	v_add_f64 v[56:57], v[56:57], -v[58:59]
	v_add_f64 v[86:87], v[54:55], v[46:47]
	v_add_f64 v[88:89], v[38:39], -v[42:43]
	v_add_f64 v[92:93], v[46:47], -v[50:51]
	;; [unrolled: 1-line block ×3, first 2 shown]
	v_fma_f64 v[64:65], v[64:65], -0.5, v[28:29]
	v_fma_f64 v[66:67], v[66:67], -0.5, v[30:31]
	;; [unrolled: 1-line block ×4, first 2 shown]
	v_add_f64 v[36:37], v[84:85], v[48:49]
	v_fma_f64 v[72:73], v[72:73], -0.5, v[52:53]
	v_add_f64 v[28:29], v[76:77], v[58:59]
	v_fma_f64 v[74:75], v[74:75], -0.5, v[54:55]
	v_add_f64 v[30:31], v[60:61], v[62:63]
	v_add_f64 v[32:33], v[80:81], v[40:41]
	;; [unrolled: 1-line block ×4, first 2 shown]
	v_fma_f64 v[40:41], v[78:79], s[4:5], v[64:65]
	v_fma_f64 v[44:45], v[78:79], s[0:1], v[64:65]
	;; [unrolled: 1-line block ×12, first 2 shown]
	ds_write_b128 v167, v[28:31]
	ds_write_b128 v167, v[32:35] offset:3024
	ds_write_b128 v167, v[40:43] offset:1008
	;; [unrolled: 1-line block ×8, first 2 shown]
	s_waitcnt lgkmcnt(0)
	s_barrier
	buffer_gl0_inv
	ds_read_b128 v[28:31], v167 offset:3024
	ds_read_b128 v[32:35], v167 offset:6048
	;; [unrolled: 1-line block ×7, first 2 shown]
	s_waitcnt lgkmcnt(6)
	v_mul_f64 v[56:57], v[98:99], v[30:31]
	s_waitcnt lgkmcnt(5)
	v_mul_f64 v[58:59], v[102:103], v[34:35]
	v_mul_f64 v[60:61], v[98:99], v[28:29]
	v_mul_f64 v[62:63], v[102:103], v[32:33]
	s_waitcnt lgkmcnt(4)
	v_mul_f64 v[64:65], v[106:107], v[38:39]
	s_waitcnt lgkmcnt(3)
	v_mul_f64 v[66:67], v[110:111], v[42:43]
	v_mul_f64 v[68:69], v[106:107], v[36:37]
	v_mul_f64 v[70:71], v[110:111], v[40:41]
	s_waitcnt lgkmcnt(2)
	v_mul_f64 v[72:73], v[114:115], v[46:47]
	s_waitcnt lgkmcnt(1)
	v_mul_f64 v[74:75], v[118:119], v[50:51]
	v_mul_f64 v[76:77], v[114:115], v[44:45]
	v_mul_f64 v[78:79], v[118:119], v[48:49]
	v_fma_f64 v[56:57], v[96:97], v[28:29], v[56:57]
	v_fma_f64 v[58:59], v[100:101], v[32:33], v[58:59]
	v_fma_f64 v[60:61], v[96:97], v[30:31], -v[60:61]
	v_fma_f64 v[62:63], v[100:101], v[34:35], -v[62:63]
	v_fma_f64 v[36:37], v[104:105], v[36:37], v[64:65]
	v_fma_f64 v[40:41], v[108:109], v[40:41], v[66:67]
	v_fma_f64 v[38:39], v[104:105], v[38:39], -v[68:69]
	v_fma_f64 v[42:43], v[108:109], v[42:43], -v[70:71]
	;; [unrolled: 4-line block ×3, first 2 shown]
	ds_read_b128 v[28:31], v167
	ds_read_b128 v[32:35], v167 offset:1008
	v_add_f64 v[64:65], v[56:57], v[58:59]
	v_add_f64 v[66:67], v[60:61], v[62:63]
	v_add_f64 v[78:79], v[60:61], -v[62:63]
	v_add_f64 v[68:69], v[36:37], v[40:41]
	v_add_f64 v[90:91], v[36:37], -v[40:41]
	v_add_f64 v[70:71], v[38:39], v[42:43]
	s_waitcnt lgkmcnt(2)
	v_add_f64 v[84:85], v[52:53], v[44:45]
	v_add_f64 v[72:73], v[44:45], v[48:49]
	s_waitcnt lgkmcnt(1)
	v_add_f64 v[76:77], v[28:29], v[56:57]
	v_add_f64 v[74:75], v[46:47], v[50:51]
	;; [unrolled: 1-line block ×3, first 2 shown]
	s_waitcnt lgkmcnt(0)
	v_add_f64 v[80:81], v[32:33], v[36:37]
	v_add_f64 v[82:83], v[34:35], v[38:39]
	;; [unrolled: 1-line block ×3, first 2 shown]
	v_add_f64 v[56:57], v[56:57], -v[58:59]
	v_add_f64 v[88:89], v[38:39], -v[42:43]
	;; [unrolled: 1-line block ×4, first 2 shown]
	v_fma_f64 v[64:65], v[64:65], -0.5, v[28:29]
	v_fma_f64 v[66:67], v[66:67], -0.5, v[30:31]
	;; [unrolled: 1-line block ×4, first 2 shown]
	v_add_f64 v[36:37], v[84:85], v[48:49]
	v_fma_f64 v[72:73], v[72:73], -0.5, v[52:53]
	v_add_f64 v[28:29], v[76:77], v[58:59]
	v_fma_f64 v[74:75], v[74:75], -0.5, v[54:55]
	v_add_f64 v[30:31], v[60:61], v[62:63]
	v_add_f64 v[32:33], v[80:81], v[40:41]
	;; [unrolled: 1-line block ×4, first 2 shown]
	v_fma_f64 v[40:41], v[78:79], s[4:5], v[64:65]
	v_fma_f64 v[44:45], v[78:79], s[0:1], v[64:65]
	;; [unrolled: 1-line block ×12, first 2 shown]
	ds_write_b128 v167, v[28:31]
	ds_write_b128 v167, v[32:35] offset:1008
	ds_write_b128 v167, v[36:39] offset:2016
	;; [unrolled: 1-line block ×8, first 2 shown]
	s_waitcnt lgkmcnt(0)
	s_barrier
	buffer_gl0_inv
	ds_read_b128 v[28:31], v167
	v_mad_u64_u32 v[64:65], null, s10, v164, 0
	v_mad_u64_u32 v[66:67], null, s8, v168, 0
	ds_read_b128 v[32:35], v167 offset:1296
	ds_read_b128 v[36:39], v167 offset:2592
	;; [unrolled: 1-line block ×6, first 2 shown]
	s_mul_i32 s0, s9, 0x51
	s_mul_hi_u32 s1, s8, 0x51
	s_mul_i32 s4, s8, 0x51
	v_mad_u64_u32 v[56:57], null, s11, v164, v[65:66]
	v_mad_u64_u32 v[57:58], null, s9, v168, v[67:68]
	s_add_i32 s5, s1, s0
	v_mov_b32_e32 v65, v56
	s_waitcnt lgkmcnt(6)
	v_mul_f64 v[60:61], v[2:3], v[30:31]
	v_mov_b32_e32 v67, v57
	v_mul_f64 v[2:3], v[2:3], v[28:29]
	s_waitcnt lgkmcnt(5)
	v_mul_f64 v[62:63], v[6:7], v[34:35]
	v_mul_f64 v[6:7], v[6:7], v[32:33]
	v_lshlrev_b64 v[56:57], 4, v[64:65]
	s_waitcnt lgkmcnt(4)
	v_mul_f64 v[64:65], v[14:15], v[38:39]
	v_mul_f64 v[14:15], v[14:15], v[36:37]
	v_lshlrev_b64 v[58:59], 4, v[66:67]
	s_waitcnt lgkmcnt(3)
	v_mul_f64 v[66:67], v[10:11], v[42:43]
	v_mul_f64 v[10:11], v[10:11], v[40:41]
	s_waitcnt lgkmcnt(2)
	v_mul_f64 v[68:69], v[22:23], v[46:47]
	v_mul_f64 v[22:23], v[22:23], v[44:45]
	;; [unrolled: 3-line block ×4, first 2 shown]
	v_add_co_u32 v56, s0, s2, v56
	v_add_co_ci_u32_e64 v57, s0, s3, v57, s0
	v_fma_f64 v[28:29], v[0:1], v[28:29], v[60:61]
	v_add_co_u32 v56, s0, v56, v58
	v_fma_f64 v[0:1], v[0:1], v[30:31], -v[2:3]
	v_fma_f64 v[30:31], v[4:5], v[32:33], v[62:63]
	v_fma_f64 v[32:33], v[4:5], v[34:35], -v[6:7]
	v_add_co_ci_u32_e64 v57, s0, v57, v59, s0
	v_fma_f64 v[34:35], v[12:13], v[36:37], v[64:65]
	v_fma_f64 v[12:13], v[12:13], v[38:39], -v[14:15]
	v_fma_f64 v[14:15], v[8:9], v[40:41], v[66:67]
	v_fma_f64 v[36:37], v[8:9], v[42:43], -v[10:11]
	;; [unrolled: 2-line block ×5, first 2 shown]
	s_lshl_b64 s[2:3], s[4:5], 4
	s_mov_b32 s4, 0x8eac7900
	v_add_co_u32 v46, s0, v56, s2
	v_add_co_ci_u32_e64 v47, s0, s3, v57, s0
	s_mov_b32 s5, 0x3f5ce55c
	v_add_co_u32 v48, s0, v46, s2
	v_add_co_ci_u32_e64 v49, s0, s3, v47, s0
	v_mul_f64 v[2:3], v[28:29], s[4:5]
	v_mul_f64 v[4:5], v[0:1], s[4:5]
	;; [unrolled: 1-line block ×3, first 2 shown]
	v_add_co_u32 v30, s0, v48, s2
	v_mul_f64 v[8:9], v[32:33], s[4:5]
	v_mul_f64 v[10:11], v[34:35], s[4:5]
	;; [unrolled: 1-line block ×3, first 2 shown]
	v_add_co_ci_u32_e64 v31, s0, s3, v49, s0
	v_mul_f64 v[14:15], v[14:15], s[4:5]
	v_mul_f64 v[16:17], v[36:37], s[4:5]
	;; [unrolled: 1-line block ×6, first 2 shown]
	v_add_co_u32 v32, s0, v30, s2
	v_mul_f64 v[26:27], v[42:43], s[4:5]
	v_mul_f64 v[28:29], v[44:45], s[4:5]
	v_add_co_ci_u32_e64 v33, s0, s3, v31, s0
	v_add_co_u32 v34, s0, v32, s2
	v_add_co_ci_u32_e64 v35, s0, s3, v33, s0
	v_add_co_u32 v0, s0, v34, s2
	v_add_co_ci_u32_e64 v1, s0, s3, v35, s0
	global_store_dwordx4 v[56:57], v[2:5], off
	global_store_dwordx4 v[46:47], v[6:9], off
	;; [unrolled: 1-line block ×7, first 2 shown]
	s_and_b32 exec_lo, exec_lo, vcc_lo
	s_cbranch_execz .LBB0_15
; %bb.14:
	s_clause 0x4
	global_load_dwordx4 v[2:5], v[158:159], off offset:1008
	global_load_dwordx4 v[6:9], v[160:161], off offset:256
	;; [unrolled: 1-line block ×5, first 2 shown]
	ds_read_b128 v[22:25], v167 offset:1008
	ds_read_b128 v[26:29], v167 offset:2304
	;; [unrolled: 1-line block ×6, first 2 shown]
	s_mul_i32 s0, s9, 0xffffe590
	s_sub_i32 s0, s0, s8
	s_waitcnt vmcnt(4) lgkmcnt(5)
	v_mul_f64 v[46:47], v[24:25], v[4:5]
	v_mul_f64 v[4:5], v[22:23], v[4:5]
	s_waitcnt vmcnt(3) lgkmcnt(4)
	v_mul_f64 v[48:49], v[28:29], v[8:9]
	v_mul_f64 v[8:9], v[26:27], v[8:9]
	;; [unrolled: 3-line block ×5, first 2 shown]
	v_fma_f64 v[22:23], v[22:23], v[2:3], v[46:47]
	v_fma_f64 v[2:3], v[2:3], v[24:25], -v[4:5]
	v_fma_f64 v[4:5], v[26:27], v[6:7], v[48:49]
	v_fma_f64 v[6:7], v[6:7], v[28:29], -v[8:9]
	;; [unrolled: 2-line block ×5, first 2 shown]
	v_mad_u64_u32 v[20:21], null, 0xffffe590, s8, v[0:1]
	v_add_nc_u32_e32 v21, s0, v21
	v_mul_f64 v[0:1], v[22:23], s[4:5]
	v_mul_f64 v[2:3], v[2:3], s[4:5]
	v_mul_f64 v[4:5], v[4:5], s[4:5]
	v_mul_f64 v[6:7], v[6:7], s[4:5]
	v_mul_f64 v[8:9], v[8:9], s[4:5]
	v_mul_f64 v[10:11], v[10:11], s[4:5]
	v_mul_f64 v[12:13], v[12:13], s[4:5]
	v_mul_f64 v[14:15], v[14:15], s[4:5]
	v_mul_f64 v[16:17], v[16:17], s[4:5]
	v_mul_f64 v[18:19], v[18:19], s[4:5]
	v_add_co_u32 v22, vcc_lo, v20, s2
	v_add_co_ci_u32_e32 v23, vcc_lo, s3, v21, vcc_lo
	v_add_co_u32 v24, vcc_lo, v22, s2
	v_add_co_ci_u32_e32 v25, vcc_lo, s3, v23, vcc_lo
	;; [unrolled: 2-line block ×4, first 2 shown]
	global_store_dwordx4 v[20:21], v[0:3], off
	global_store_dwordx4 v[22:23], v[4:7], off
	;; [unrolled: 1-line block ×5, first 2 shown]
	global_load_dwordx4 v[0:3], v[156:157], off offset:1344
	v_add_co_u32 v8, vcc_lo, v28, s2
	v_add_co_ci_u32_e32 v9, vcc_lo, s3, v29, vcc_lo
	s_waitcnt vmcnt(0) lgkmcnt(0)
	v_mul_f64 v[4:5], v[44:45], v[2:3]
	v_mul_f64 v[2:3], v[42:43], v[2:3]
	v_fma_f64 v[4:5], v[42:43], v[0:1], v[4:5]
	v_fma_f64 v[2:3], v[0:1], v[44:45], -v[2:3]
	v_mul_f64 v[0:1], v[4:5], s[4:5]
	v_mul_f64 v[2:3], v[2:3], s[4:5]
	ds_read_b128 v[4:7], v167 offset:8784
	global_store_dwordx4 v[8:9], v[0:3], off
	global_load_dwordx4 v[0:3], v[165:166], off offset:592
	s_waitcnt vmcnt(0) lgkmcnt(0)
	v_mul_f64 v[10:11], v[6:7], v[2:3]
	v_mul_f64 v[2:3], v[4:5], v[2:3]
	v_fma_f64 v[4:5], v[4:5], v[0:1], v[10:11]
	v_fma_f64 v[2:3], v[0:1], v[6:7], -v[2:3]
	v_mul_f64 v[0:1], v[4:5], s[4:5]
	v_mul_f64 v[2:3], v[2:3], s[4:5]
	v_add_co_u32 v4, vcc_lo, v8, s2
	v_add_co_ci_u32_e32 v5, vcc_lo, s3, v9, vcc_lo
	global_store_dwordx4 v[4:5], v[0:3], off
.LBB0_15:
	s_endpgm
	.section	.rodata,"a",@progbits
	.p2align	6, 0x0
	.amdhsa_kernel bluestein_single_back_len567_dim1_dp_op_CI_CI
		.amdhsa_group_segment_fixed_size 9072
		.amdhsa_private_segment_fixed_size 0
		.amdhsa_kernarg_size 104
		.amdhsa_user_sgpr_count 6
		.amdhsa_user_sgpr_private_segment_buffer 1
		.amdhsa_user_sgpr_dispatch_ptr 0
		.amdhsa_user_sgpr_queue_ptr 0
		.amdhsa_user_sgpr_kernarg_segment_ptr 1
		.amdhsa_user_sgpr_dispatch_id 0
		.amdhsa_user_sgpr_flat_scratch_init 0
		.amdhsa_user_sgpr_private_segment_size 0
		.amdhsa_wavefront_size32 1
		.amdhsa_uses_dynamic_stack 0
		.amdhsa_system_sgpr_private_segment_wavefront_offset 0
		.amdhsa_system_sgpr_workgroup_id_x 1
		.amdhsa_system_sgpr_workgroup_id_y 0
		.amdhsa_system_sgpr_workgroup_id_z 0
		.amdhsa_system_sgpr_workgroup_info 0
		.amdhsa_system_vgpr_workitem_id 0
		.amdhsa_next_free_vgpr 221
		.amdhsa_next_free_sgpr 27
		.amdhsa_reserve_vcc 1
		.amdhsa_reserve_flat_scratch 0
		.amdhsa_float_round_mode_32 0
		.amdhsa_float_round_mode_16_64 0
		.amdhsa_float_denorm_mode_32 3
		.amdhsa_float_denorm_mode_16_64 3
		.amdhsa_dx10_clamp 1
		.amdhsa_ieee_mode 1
		.amdhsa_fp16_overflow 0
		.amdhsa_workgroup_processor_mode 1
		.amdhsa_memory_ordered 1
		.amdhsa_forward_progress 0
		.amdhsa_shared_vgpr_count 0
		.amdhsa_exception_fp_ieee_invalid_op 0
		.amdhsa_exception_fp_denorm_src 0
		.amdhsa_exception_fp_ieee_div_zero 0
		.amdhsa_exception_fp_ieee_overflow 0
		.amdhsa_exception_fp_ieee_underflow 0
		.amdhsa_exception_fp_ieee_inexact 0
		.amdhsa_exception_int_div_zero 0
	.end_amdhsa_kernel
	.text
.Lfunc_end0:
	.size	bluestein_single_back_len567_dim1_dp_op_CI_CI, .Lfunc_end0-bluestein_single_back_len567_dim1_dp_op_CI_CI
                                        ; -- End function
	.section	.AMDGPU.csdata,"",@progbits
; Kernel info:
; codeLenInByte = 13636
; NumSgprs: 29
; NumVgprs: 221
; ScratchSize: 0
; MemoryBound: 0
; FloatMode: 240
; IeeeMode: 1
; LDSByteSize: 9072 bytes/workgroup (compile time only)
; SGPRBlocks: 3
; VGPRBlocks: 27
; NumSGPRsForWavesPerEU: 29
; NumVGPRsForWavesPerEU: 221
; Occupancy: 4
; WaveLimiterHint : 1
; COMPUTE_PGM_RSRC2:SCRATCH_EN: 0
; COMPUTE_PGM_RSRC2:USER_SGPR: 6
; COMPUTE_PGM_RSRC2:TRAP_HANDLER: 0
; COMPUTE_PGM_RSRC2:TGID_X_EN: 1
; COMPUTE_PGM_RSRC2:TGID_Y_EN: 0
; COMPUTE_PGM_RSRC2:TGID_Z_EN: 0
; COMPUTE_PGM_RSRC2:TIDIG_COMP_CNT: 0
	.text
	.p2alignl 6, 3214868480
	.fill 48, 4, 3214868480
	.type	__hip_cuid_fc0118ba9cf9dd43,@object ; @__hip_cuid_fc0118ba9cf9dd43
	.section	.bss,"aw",@nobits
	.globl	__hip_cuid_fc0118ba9cf9dd43
__hip_cuid_fc0118ba9cf9dd43:
	.byte	0                               ; 0x0
	.size	__hip_cuid_fc0118ba9cf9dd43, 1

	.ident	"AMD clang version 19.0.0git (https://github.com/RadeonOpenCompute/llvm-project roc-6.4.0 25133 c7fe45cf4b819c5991fe208aaa96edf142730f1d)"
	.section	".note.GNU-stack","",@progbits
	.addrsig
	.addrsig_sym __hip_cuid_fc0118ba9cf9dd43
	.amdgpu_metadata
---
amdhsa.kernels:
  - .args:
      - .actual_access:  read_only
        .address_space:  global
        .offset:         0
        .size:           8
        .value_kind:     global_buffer
      - .actual_access:  read_only
        .address_space:  global
        .offset:         8
        .size:           8
        .value_kind:     global_buffer
      - .actual_access:  read_only
        .address_space:  global
        .offset:         16
        .size:           8
        .value_kind:     global_buffer
      - .actual_access:  read_only
        .address_space:  global
        .offset:         24
        .size:           8
        .value_kind:     global_buffer
      - .actual_access:  read_only
        .address_space:  global
        .offset:         32
        .size:           8
        .value_kind:     global_buffer
      - .offset:         40
        .size:           8
        .value_kind:     by_value
      - .address_space:  global
        .offset:         48
        .size:           8
        .value_kind:     global_buffer
      - .address_space:  global
        .offset:         56
        .size:           8
        .value_kind:     global_buffer
      - .address_space:  global
        .offset:         64
        .size:           8
        .value_kind:     global_buffer
      - .address_space:  global
        .offset:         72
        .size:           8
        .value_kind:     global_buffer
      - .offset:         80
        .size:           4
        .value_kind:     by_value
      - .address_space:  global
        .offset:         88
        .size:           8
        .value_kind:     global_buffer
      - .address_space:  global
        .offset:         96
        .size:           8
        .value_kind:     global_buffer
    .group_segment_fixed_size: 9072
    .kernarg_segment_align: 8
    .kernarg_segment_size: 104
    .language:       OpenCL C
    .language_version:
      - 2
      - 0
    .max_flat_workgroup_size: 63
    .name:           bluestein_single_back_len567_dim1_dp_op_CI_CI
    .private_segment_fixed_size: 0
    .sgpr_count:     29
    .sgpr_spill_count: 0
    .symbol:         bluestein_single_back_len567_dim1_dp_op_CI_CI.kd
    .uniform_work_group_size: 1
    .uses_dynamic_stack: false
    .vgpr_count:     221
    .vgpr_spill_count: 0
    .wavefront_size: 32
    .workgroup_processor_mode: 1
amdhsa.target:   amdgcn-amd-amdhsa--gfx1030
amdhsa.version:
  - 1
  - 2
...

	.end_amdgpu_metadata
